;; amdgpu-corpus repo=ROCm/bitsandbytes kind=harvested arch=n/a opt=n/a
	.text
	.amdgcn_target "amdgcn-amd-amdhsa--gfx90a"
	.amdhsa_code_object_version 6
	.protected	_Z27kspmm_coo_very_sparse_naiveI6__halfLi32ELi16EEvPiS1_S1_S1_S1_PS0_PT_S2_Pfiiii ; -- Begin function _Z27kspmm_coo_very_sparse_naiveI6__halfLi32ELi16EEvPiS1_S1_S1_S1_PS0_PT_S2_Pfiiii
	.globl	_Z27kspmm_coo_very_sparse_naiveI6__halfLi32ELi16EEvPiS1_S1_S1_S1_PS0_PT_S2_Pfiiii
	.p2align	8
	.type	_Z27kspmm_coo_very_sparse_naiveI6__halfLi32ELi16EEvPiS1_S1_S1_S1_PS0_PT_S2_Pfiiii,@function
_Z27kspmm_coo_very_sparse_naiveI6__halfLi32ELi16EEvPiS1_S1_S1_S1_PS0_PT_S2_Pfiiii: ; @_Z27kspmm_coo_very_sparse_naiveI6__halfLi32ELi16EEvPiS1_S1_S1_S1_PS0_PT_S2_Pfiiii
; %bb.0:
	s_load_dwordx16 s[68:83], s[4:5], 0x0
	s_add_u32 s0, s0, s9
	s_mov_b32 s9, 0
	s_addc_u32 s1, s1, 0
	s_lshl_b64 s[6:7], s[8:9], 2
	s_waitcnt lgkmcnt(0)
	s_add_u32 s12, s68, s6
	s_addc_u32 s13, s69, s7
	s_add_u32 s6, s70, s6
	s_addc_u32 s7, s71, s7
	s_load_dword s10, s[6:7], 0x0
	s_load_dword s33, s[12:13], 0x0
	s_mov_b32 s6, 0
	s_waitcnt lgkmcnt(0)
	s_cmp_eq_u32 s10, 0
	s_cbranch_scc1 .LBB33_2
; %bb.1:
	s_ashr_i32 s11, s10, 31
	s_lshl_b64 s[6:7], s[10:11], 2
	s_add_u32 s6, s72, s6
	s_addc_u32 s7, s73, s7
	s_add_u32 s6, s6, -4
	s_addc_u32 s7, s7, -1
	s_load_dword s6, s[6:7], 0x0
.LBB33_2:
	s_waitcnt lgkmcnt(0)
	s_ashr_i32 s7, s6, 31
	s_lshl_b64 s[10:11], s[6:7], 2
	s_add_u32 s12, s74, s10
	s_addc_u32 s13, s75, s11
	s_cmp_lt_i32 s33, 1
	s_cselect_b64 s[14:15], -1, 0
	s_cmp_gt_i32 s33, 0
	v_mov_b32_e32 v1, 0
	v_mov_b32_e32 v2, 0
	s_cbranch_scc0 .LBB33_4
; %bb.3:
	s_lshl_b64 s[8:9], s[6:7], 1
	s_add_u32 s8, s78, s8
	s_addc_u32 s9, s79, s9
	v_mov_b32_e32 v2, 0
	global_load_ushort v2, v2, s[8:9]
	s_add_u32 s8, s76, s10
	s_addc_u32 s9, s77, s11
	s_load_dword s9, s[8:9], 0x0
.LBB33_4:
	s_nop 0
	s_load_dword s8, s[12:13], 0x0
	s_waitcnt vmcnt(0)
	buffer_store_short v2, off, s[0:3], 0
	s_waitcnt lgkmcnt(0)
	v_mov_b32_e32 v2, s9
	s_mov_b32 s9, 0
	s_cmp_lt_i32 s33, 2
	s_mov_b32 s12, 0
	buffer_store_dword v2, off, s[0:3], 0 offset:64
	s_cbranch_scc1 .LBB33_6
; %bb.5:
	s_lshl_b64 s[12:13], s[6:7], 1
	s_add_u32 s12, s78, s12
	s_addc_u32 s13, s79, s13
	v_mov_b32_e32 v1, 0
	global_load_ushort v1, v1, s[12:13] offset:2
	s_add_u32 s12, s76, s10
	s_addc_u32 s13, s77, s11
	s_load_dword s12, s[12:13], 0x4
.LBB33_6:
	s_waitcnt vmcnt(0)
	buffer_store_short v1, off, s[0:3], 0 offset:2
	s_waitcnt lgkmcnt(0)
	v_mov_b32_e32 v1, s12
	buffer_store_dword v1, off, s[0:3], 0 offset:68
	s_cmp_lt_i32 s33, 3
	v_mov_b32_e32 v1, 0
	v_mov_b32_e32 v2, 0
	s_cbranch_scc1 .LBB33_8
; %bb.7:
	s_lshl_b64 s[12:13], s[6:7], 1
	s_add_u32 s12, s78, s12
	s_addc_u32 s13, s79, s13
	v_mov_b32_e32 v2, 0
	global_load_ushort v2, v2, s[12:13] offset:4
	s_add_u32 s12, s76, s10
	s_addc_u32 s13, s77, s11
	s_load_dword s9, s[12:13], 0x8
.LBB33_8:
	s_waitcnt vmcnt(0)
	buffer_store_short v2, off, s[0:3], 0 offset:4
	s_waitcnt lgkmcnt(0)
	v_mov_b32_e32 v2, s9
	s_mov_b32 s9, 0
	s_cmp_lt_i32 s33, 4
	s_mov_b32 s12, 0
	buffer_store_dword v2, off, s[0:3], 0 offset:72
	s_cbranch_scc1 .LBB33_10
; %bb.9:
	s_lshl_b64 s[12:13], s[6:7], 1
	s_add_u32 s12, s78, s12
	s_addc_u32 s13, s79, s13
	v_mov_b32_e32 v1, 0
	global_load_ushort v1, v1, s[12:13] offset:6
	s_add_u32 s12, s76, s10
	s_addc_u32 s13, s77, s11
	s_load_dword s12, s[12:13], 0xc
.LBB33_10:
	s_waitcnt vmcnt(0)
	buffer_store_short v1, off, s[0:3], 0 offset:6
	s_waitcnt lgkmcnt(0)
	v_mov_b32_e32 v1, s12
	buffer_store_dword v1, off, s[0:3], 0 offset:76
	s_cmp_lt_i32 s33, 5
	v_mov_b32_e32 v1, 0
	v_mov_b32_e32 v2, 0
	s_cbranch_scc1 .LBB33_12
; %bb.11:
	s_lshl_b64 s[12:13], s[6:7], 1
	s_add_u32 s12, s78, s12
	s_addc_u32 s13, s79, s13
	v_mov_b32_e32 v2, 0
	global_load_ushort v2, v2, s[12:13] offset:8
	s_add_u32 s12, s76, s10
	s_addc_u32 s13, s77, s11
	s_load_dword s9, s[12:13], 0x10
.LBB33_12:
	s_waitcnt vmcnt(0)
	buffer_store_short v2, off, s[0:3], 0 offset:8
	;; [unrolled: 38-line block ×15, first 2 shown]
	s_waitcnt lgkmcnt(0)
	v_mov_b32_e32 v2, s9
	s_cmp_lt_i32 s33, 32
	s_mov_b32 s9, 0
	buffer_store_dword v2, off, s[0:3], 0 offset:184
	s_cbranch_scc1 .LBB33_66
; %bb.65:
	s_lshl_b64 s[6:7], s[6:7], 1
	s_add_u32 s6, s78, s6
	s_addc_u32 s7, s79, s7
	v_mov_b32_e32 v1, 0
	global_load_ushort v1, v1, s[6:7] offset:62
	s_add_u32 s6, s76, s10
	s_addc_u32 s7, s77, s11
	s_load_dword s9, s[6:7], 0x7c
.LBB33_66:
	s_load_dword s78, s[4:5], 0x54
	v_lshlrev_b32_e32 v2, 5, v0
	v_and_b32_e32 v21, 0x7800, v2
	s_waitcnt vmcnt(0)
	buffer_store_short v1, off, s[0:3], 0 offset:62
	s_waitcnt lgkmcnt(0)
	v_mov_b32_e32 v1, s9
	v_cmp_gt_i32_e32 vcc, s78, v21
	buffer_store_dword v1, off, s[0:3], 0 offset:188
	s_and_saveexec_b64 s[6:7], vcc
	s_cbranch_execz .LBB33_250
; %bb.67:
	s_load_dwordx2 s[6:7], s[4:5], 0x40
	s_load_dword s9, s[4:5], 0x64
                                        ; implicit-def: $vgpr85 : SGPR spill to VGPR lane
	s_mul_i32 s79, s8, s78
                                        ; implicit-def: $vgpr84 : SGPR spill to VGPR lane
	v_add_lshl_u32 v1, v0, v21, 2
	v_and_b32_e32 v26, 0x7e0, v2
	s_waitcnt lgkmcnt(0)
	s_cmp_lg_u64 s[6:7], 0
	s_cselect_b64 s[4:5], -1, 0
	v_writelane_b32 v85, s4, 0
	s_and_b32 s62, s9, 0xffff
	v_writelane_b32 v85, s5, 1
	s_lshl_b32 s4, s62, 5
	v_writelane_b32 v85, s4, 2
	s_add_u32 s4, s82, 2
	v_writelane_b32 v85, s4, 3
	s_addc_u32 s4, s83, 0
	v_writelane_b32 v85, s4, 4
	s_add_u32 s4, s82, 4
	v_writelane_b32 v85, s4, 5
	s_addc_u32 s4, s83, 0
	;; [unrolled: 4-line block ×7, first 2 shown]
	s_add_u32 s63, s80, 16
	s_addc_u32 s64, s81, 0
	v_writelane_b32 v85, s4, 16
	s_add_u32 s4, s80, 18
	v_writelane_b32 v85, s4, 17
	s_addc_u32 s4, s81, 0
	v_writelane_b32 v85, s4, 18
	s_add_u32 s4, s80, 20
	v_writelane_b32 v85, s4, 19
	;; [unrolled: 4-line block ×23, first 2 shown]
	s_addc_u32 s4, s81, 0
	s_ashr_i32 s65, s79, 31
	v_writelane_b32 v85, s4, 62
	s_add_u32 s4, s82, 16
	v_writelane_b32 v85, s4, 63
	s_addc_u32 s4, s83, 0
	v_writelane_b32 v84, s4, 0
	s_add_u32 s4, s82, 18
	v_writelane_b32 v84, s4, 1
	s_addc_u32 s4, s83, 0
	;; [unrolled: 4-line block ×24, first 2 shown]
	v_mov_b32_e32 v2, s7
	v_add_co_u32_e32 v18, vcc, s6, v1
	v_writelane_b32 v84, s4, 46
	v_addc_co_u32_e32 v19, vcc, 0, v2, vcc
	v_lshlrev_b32_e32 v27, 1, v0
	v_mov_b32_e32 v28, v21
	s_lshl_b32 s66, s62, 1
	s_mov_b32 s67, 0
	s_lshl_b32 s68, s62, 2
	s_movk_i32 s69, 0x7ff
	s_mov_b32 s70, 0x5040100
	s_mov_b64 s[86:87], 0
	v_writelane_b32 v84, s14, 47
	v_writelane_b32 v84, s15, 48
	s_branch .LBB33_69
.LBB33_68:                              ;   in Loop: Header=BB33_69 Depth=1
	s_or_b64 exec, exec, s[4:5]
	v_readlane_b32 s4, v85, 2
	v_add_u32_e32 v28, s4, v28
	v_cmp_le_i32_e32 vcc, s78, v28
	s_or_b64 s[86:87], vcc, s[86:87]
	s_andn2_b64 exec, exec, s[86:87]
	s_cbranch_execz .LBB33_250
.LBB33_69:                              ; =>This Loop Header: Depth=1
                                        ;     Child Loop BB33_72 Depth 2
                                        ;     Child Loop BB33_85 Depth 2
	v_readlane_b32 s4, v85, 0
	v_readlane_b32 s5, v85, 1
	s_andn2_b64 vcc, exec, s[4:5]
	s_cbranch_vccnz .LBB33_75
; %bb.70:                               ;   in Loop: Header=BB33_69 Depth=1
	s_mov_b64 s[4:5], 0
	v_pk_mov_b32 v[2:3], v[18:19], v[18:19] op_sel:[0,1]
	v_mov_b32_e32 v1, v27
	v_mov_b32_e32 v4, v0
	s_branch .LBB33_72
.LBB33_71:                              ;   in Loop: Header=BB33_72 Depth=2
	s_or_b64 exec, exec, s[6:7]
	v_add_u32_e32 v4, s62, v4
	v_cmp_lt_u32_e32 vcc, s69, v4
	v_mov_b32_e32 v5, s67
	s_or_b64 s[4:5], vcc, s[4:5]
	v_add_co_u32_e32 v2, vcc, s68, v2
	v_add_u32_e32 v1, s66, v1
	v_addc_co_u32_e32 v3, vcc, v3, v5, vcc
	s_andn2_b64 exec, exec, s[4:5]
	s_cbranch_execz .LBB33_74
.LBB33_72:                              ;   Parent Loop BB33_69 Depth=1
                                        ; =>  This Inner Loop Header: Depth=2
	v_add_u32_e32 v5, v21, v4
	v_cmp_gt_i32_e32 vcc, s78, v5
	s_and_saveexec_b64 s[6:7], vcc
	s_cbranch_execz .LBB33_71
; %bb.73:                               ;   in Loop: Header=BB33_72 Depth=2
	global_load_dword v5, v[2:3], off
	s_waitcnt vmcnt(0)
	v_cvt_f16_f32_e32 v5, v5
	ds_write_b16 v1, v5
	s_branch .LBB33_71
.LBB33_74:                              ;   in Loop: Header=BB33_69 Depth=1
	s_or_b64 exec, exec, s[4:5]
	s_waitcnt lgkmcnt(0)
	s_barrier
.LBB33_75:                              ;   in Loop: Header=BB33_69 Depth=1
	s_andn2_b64 vcc, exec, s[14:15]
	v_add_u32_e32 v20, v28, v26
	s_cbranch_vccnz .LBB33_77
; %bb.76:                               ;   in Loop: Header=BB33_69 Depth=1
	v_or_b32_e32 v53, 8, v20
	s_mov_b64 s[4:5], 0
	s_mov_b32 s6, 0
	s_branch .LBB33_78
.LBB33_77:                              ;   in Loop: Header=BB33_69 Depth=1
	s_mov_b64 s[4:5], -1
                                        ; implicit-def: $sgpr6
                                        ; implicit-def: $vgpr53
.LBB33_78:                              ;   in Loop: Header=BB33_69 Depth=1
	v_mov_b32_e32 v64, s6
	v_or_b32_e32 v44, 16, v20
	v_or_b32_e32 v34, 24, v20
	v_add_u32_e32 v36, 32, v20
	s_andn2_b64 vcc, exec, s[4:5]
	v_cmp_gt_i32_e64 s[4:5], s78, v44
	v_cmp_le_i32_e64 s[6:7], s78, v44
	v_cmp_gt_i32_e64 s[8:9], s78, v34
	v_cmp_le_i32_e64 s[10:11], s78, v34
	v_cmp_le_i32_e64 s[12:13], s78, v36
	v_mov_b32_e32 v63, v64
	v_mov_b32_e32 v62, v64
	;; [unrolled: 1-line block ×31, first 2 shown]
	s_cbranch_vccnz .LBB33_170
; %bb.79:                               ;   in Loop: Header=BB33_69 Depth=1
	v_or_b32_e32 v1, 1, v20
	v_cmp_gt_i32_e64 s[18:19], s78, v1
	v_or_b32_e32 v1, 2, v20
	v_cmp_gt_i32_e64 s[20:21], s78, v1
	v_or_b32_e32 v1, 3, v20
	v_cmp_gt_i32_e64 s[22:23], s78, v1
	v_or_b32_e32 v1, 4, v20
	v_cmp_gt_i32_e64 s[24:25], s78, v1
	v_or_b32_e32 v1, 5, v20
	v_cmp_gt_i32_e64 s[26:27], s78, v1
	v_or_b32_e32 v1, 6, v20
	v_cmp_gt_i32_e64 s[28:29], s78, v1
	v_or_b32_e32 v1, 7, v20
	v_cmp_gt_i32_e64 s[30:31], s78, v1
	v_or_b32_e32 v1, 9, v20
	v_cmp_gt_i32_e64 s[34:35], s78, v1
	v_or_b32_e32 v1, 10, v20
	v_cmp_gt_i32_e64 s[36:37], s78, v1
	v_or_b32_e32 v1, 11, v20
	v_cmp_gt_i32_e64 s[38:39], s78, v1
	v_or_b32_e32 v1, 12, v20
	v_cmp_gt_i32_e64 s[40:41], s78, v1
	v_or_b32_e32 v1, 13, v20
	v_cmp_gt_i32_e64 s[42:43], s78, v1
	v_or_b32_e32 v1, 14, v20
	v_cmp_gt_i32_e64 s[44:45], s78, v1
	v_or_b32_e32 v1, 15, v20
	v_cmp_gt_i32_e64 s[46:47], s78, v1
	v_or_b32_e32 v1, 17, v20
	v_cmp_gt_i32_e64 s[48:49], s78, v1
	v_or_b32_e32 v1, 18, v20
	v_cmp_gt_i32_e64 s[50:51], s78, v1
	v_or_b32_e32 v1, 19, v20
	v_cmp_gt_i32_e64 s[52:53], s78, v1
	v_or_b32_e32 v1, 20, v20
	v_cmp_gt_i32_e64 s[54:55], s78, v1
	v_or_b32_e32 v1, 21, v20
	v_cmp_gt_i32_e64 s[56:57], s78, v1
	v_or_b32_e32 v1, 22, v20
	v_cmp_gt_i32_e64 s[58:59], s78, v1
	v_or_b32_e32 v1, 23, v20
	v_cmp_gt_i32_e64 s[60:61], s78, v1
	v_or_b32_e32 v1, 25, v20
	v_cmp_gt_i32_e64 s[72:73], s78, v1
	v_writelane_b32 v84, s72, 49
	v_or_b32_e32 v1, 26, v20
	v_writelane_b32 v84, s73, 50
	v_cmp_gt_i32_e64 s[72:73], s78, v1
	v_writelane_b32 v84, s72, 51
	v_or_b32_e32 v1, 27, v20
	v_writelane_b32 v84, s73, 52
	v_cmp_gt_i32_e64 s[72:73], s78, v1
	;; [unrolled: 4-line block ×4, first 2 shown]
	v_writelane_b32 v84, s72, 57
	v_or_b32_e32 v1, 30, v20
	v_or_b32_e32 v53, 8, v20
	v_writelane_b32 v84, s73, 58
	v_cmp_gt_i32_e64 s[72:73], s78, v1
	v_or_b32_e32 v1, 31, v20
	v_cmp_gt_i32_e32 vcc, s78, v20
	v_cmp_gt_i32_e64 s[14:15], s78, v53
	v_cmp_le_i32_e64 s[16:17], s78, v53
	v_writelane_b32 v84, s72, 59
	v_cmp_gt_i32_e64 s[74:75], s78, v1
	v_ashrrev_i32_e32 v1, 31, v20
	v_mov_b32_e32 v65, 64
	v_mov_b32_e32 v66, 0
	v_mov_b32_e32 v29, 0
	s_mov_b32 s71, s33
	v_mov_b32_e32 v30, 0
	v_mov_b32_e32 v31, 0
	;; [unrolled: 1-line block ×31, first 2 shown]
	v_writelane_b32 v84, s73, 60
	s_branch .LBB33_85
.LBB33_80:                              ;   in Loop: Header=BB33_85 Depth=2
	s_or_b64 exec, exec, s[76:77]
	s_waitcnt vmcnt(0)
	v_fma_mixlo_f16 v38, v14, v76, v38 op_sel_hi:[1,0,1]
	v_fma_mixlo_f16 v37, v81, v76, v37 op_sel_hi:[1,0,1]
	;; [unrolled: 1-line block ×8, first 2 shown]
.LBB33_81:                              ;   in Loop: Header=BB33_85 Depth=2
	s_or_b64 exec, exec, s[94:95]
	s_waitcnt vmcnt(0)
	v_fma_mixlo_f16 v47, v10, v76, v47 op_sel_hi:[1,0,1]
	v_fma_mixlo_f16 v46, v77, v76, v46 op_sel_hi:[1,0,1]
	;; [unrolled: 1-line block ×8, first 2 shown]
.LBB33_82:                              ;   in Loop: Header=BB33_85 Depth=2
	s_or_b64 exec, exec, s[92:93]
	v_fma_mixlo_f16 v56, v6, v76, v56 op_sel_hi:[1,0,1]
	v_fma_mixlo_f16 v55, v72, v76, v55 op_sel_hi:[1,0,1]
	;; [unrolled: 1-line block ×7, first 2 shown]
	s_waitcnt vmcnt(0)
	v_fma_mixlo_f16 v48, v75, v76, v48 op_sel_hi:[1,0,1]
.LBB33_83:                              ;   in Loop: Header=BB33_85 Depth=2
	s_or_b64 exec, exec, s[90:91]
	s_waitcnt vmcnt(0)
	v_fma_mixlo_f16 v64, v2, v71, v64 op_sel_hi:[1,1,1]
	v_fma_mixlo_f16 v63, v67, v71, v63 op_sel_hi:[1,1,1]
	v_fma_mixlo_f16 v62, v3, v71, v62 op_sel_hi:[1,1,1]
	v_fma_mixlo_f16 v61, v68, v71, v61 op_sel_hi:[1,1,1]
	v_fma_mixlo_f16 v60, v4, v71, v60 op_sel_hi:[1,1,1]
	v_fma_mixlo_f16 v59, v69, v71, v59 op_sel_hi:[1,1,1]
	v_fma_mixlo_f16 v58, v5, v71, v58 op_sel_hi:[1,1,1]
	v_fma_mixlo_f16 v57, v70, v71, v57 op_sel_hi:[1,1,1]
.LBB33_84:                              ;   in Loop: Header=BB33_85 Depth=2
	s_or_b64 exec, exec, s[88:89]
	s_add_i32 s71, s71, -1
	v_add_u32_e32 v65, 4, v65
	s_cmp_eq_u32 s71, 0
	v_add_u32_e32 v66, 2, v66
	s_cbranch_scc1 .LBB33_169
.LBB33_85:                              ;   Parent Loop BB33_69 Depth=1
                                        ; =>  This Inner Loop Header: Depth=2
	s_and_saveexec_b64 s[88:89], vcc
	s_cbranch_execz .LBB33_84
; %bb.86:                               ;   in Loop: Header=BB33_85 Depth=2
	buffer_load_dword v2, v65, s[0:3], 0 offen
	s_mov_b64 s[92:93], 0
                                        ; implicit-def: $vgpr67
                                        ; implicit-def: $vgpr68
                                        ; implicit-def: $vgpr69
                                        ; implicit-def: $vgpr6_vgpr7
                                        ; implicit-def: $sgpr84
	s_waitcnt vmcnt(0)
	v_mul_lo_u32 v24, v2, s78
	v_add_u32_e32 v8, v20, v24
                                        ; implicit-def: $vgpr2
	s_and_saveexec_b64 s[76:77], s[16:17]
	s_xor_b64 s[90:91], exec, s[76:77]
	s_cbranch_execz .LBB33_97
; %bb.87:                               ;   in Loop: Header=BB33_85 Depth=2
	v_ashrrev_i32_e32 v9, 31, v8
	v_lshlrev_b64 v[2:3], 1, v[8:9]
	v_mov_b32_e32 v4, s81
	v_add_co_u32_e64 v8, s[76:77], s80, v2
	v_addc_co_u32_e64 v9, s[76:77], v4, v3, s[76:77]
	global_load_ushort v2, v[8:9], off
	v_mov_b32_e32 v3, 0
	v_mov_b32_e32 v67, 0
	s_and_saveexec_b64 s[76:77], s[18:19]
	s_cbranch_execz .LBB33_89
; %bb.88:                               ;   in Loop: Header=BB33_85 Depth=2
	global_load_ushort v67, v[8:9], off offset:2
.LBB33_89:                              ;   in Loop: Header=BB33_85 Depth=2
	s_or_b64 exec, exec, s[76:77]
	s_and_saveexec_b64 s[76:77], s[20:21]
	s_cbranch_execz .LBB33_91
; %bb.90:                               ;   in Loop: Header=BB33_85 Depth=2
	global_load_ushort v3, v[8:9], off offset:4
.LBB33_91:                              ;   in Loop: Header=BB33_85 Depth=2
	s_or_b64 exec, exec, s[76:77]
	v_mov_b32_e32 v4, 0
	v_mov_b32_e32 v68, 0
	s_and_saveexec_b64 s[76:77], s[22:23]
	s_cbranch_execz .LBB33_93
; %bb.92:                               ;   in Loop: Header=BB33_85 Depth=2
	global_load_ushort v68, v[8:9], off offset:6
.LBB33_93:                              ;   in Loop: Header=BB33_85 Depth=2
	s_or_b64 exec, exec, s[76:77]
	s_and_saveexec_b64 s[76:77], s[24:25]
	s_cbranch_execz .LBB33_95
; %bb.94:                               ;   in Loop: Header=BB33_85 Depth=2
	global_load_ushort v4, v[8:9], off offset:8
.LBB33_95:                              ;   in Loop: Header=BB33_85 Depth=2
	s_or_b64 exec, exec, s[76:77]
	v_mov_b32_e32 v5, 0
	v_mov_b32_e32 v69, 0
	s_and_saveexec_b64 s[76:77], s[26:27]
	s_cbranch_execz .LBB33_100
; %bb.96:                               ;   in Loop: Header=BB33_85 Depth=2
	global_load_ushort v69, v[8:9], off offset:10
	s_or_b64 exec, exec, s[76:77]
	s_and_saveexec_b64 s[76:77], s[28:29]
	s_cbranch_execz .LBB33_102
	s_branch .LBB33_101
.LBB33_97:                              ;   in Loop: Header=BB33_85 Depth=2
	s_andn2_saveexec_b64 s[90:91], s[90:91]
	s_cbranch_execz .LBB33_105
.LBB33_98:                              ;   in Loop: Header=BB33_85 Depth=2
	s_waitcnt vmcnt(0)
	v_ashrrev_i32_e32 v2, 31, v8
	v_lshrrev_b32_e32 v2, 29, v2
	v_add_u32_e32 v2, v8, v2
	v_ashrrev_i32_e32 v2, 3, v2
	v_ashrrev_i32_e32 v3, 31, v2
	v_lshlrev_b64 v[2:3], 4, v[2:3]
	v_mov_b32_e32 v4, s81
	v_add_co_u32_e64 v6, s[76:77], s80, v2
	v_addc_co_u32_e64 v7, s[76:77], v4, v3, s[76:77]
	global_load_dwordx4 v[2:5], v[6:7], off
	v_add_co_u32_e64 v6, s[76:77], 14, v6
	v_addc_co_u32_e64 v7, s[76:77], 0, v7, s[76:77]
	s_or_b64 s[92:93], s[92:93], exec
	s_waitcnt vmcnt(0)
	v_lshrrev_b32_e32 v67, 16, v2
	v_lshrrev_b32_e32 v68, 16, v3
	;; [unrolled: 1-line block ×3, first 2 shown]
	s_or_b64 exec, exec, s[90:91]
	v_mov_b32_e32 v70, s84
	s_and_saveexec_b64 s[76:77], s[92:93]
	s_cbranch_execnz .LBB33_106
.LBB33_99:                              ;   in Loop: Header=BB33_85 Depth=2
	s_or_b64 exec, exec, s[76:77]
	buffer_load_ushort v71, v66, s[0:3], 0 offen
	s_and_saveexec_b64 s[90:91], s[14:15]
	s_cbranch_execz .LBB33_83
	s_branch .LBB33_107
.LBB33_100:                             ;   in Loop: Header=BB33_85 Depth=2
	s_or_b64 exec, exec, s[76:77]
	s_and_saveexec_b64 s[76:77], s[28:29]
	s_cbranch_execz .LBB33_102
.LBB33_101:                             ;   in Loop: Header=BB33_85 Depth=2
	global_load_ushort v5, v[8:9], off offset:12
.LBB33_102:                             ;   in Loop: Header=BB33_85 Depth=2
	s_or_b64 exec, exec, s[76:77]
                                        ; implicit-def: $vgpr6_vgpr7
	s_and_saveexec_b64 s[76:77], s[30:31]
	s_xor_b64 s[84:85], exec, s[76:77]
; %bb.103:                              ;   in Loop: Header=BB33_85 Depth=2
	v_add_co_u32_e64 v6, s[76:77], 14, v8
	s_mov_b64 s[92:93], exec
	v_addc_co_u32_e64 v7, s[76:77], 0, v9, s[76:77]
; %bb.104:                              ;   in Loop: Header=BB33_85 Depth=2
	s_or_b64 exec, exec, s[84:85]
	s_mov_b32 s84, 0
	s_and_b64 s[92:93], s[92:93], exec
                                        ; implicit-def: $vgpr8
	s_andn2_saveexec_b64 s[90:91], s[90:91]
	s_cbranch_execnz .LBB33_98
.LBB33_105:                             ;   in Loop: Header=BB33_85 Depth=2
	s_or_b64 exec, exec, s[90:91]
	v_mov_b32_e32 v70, s84
	s_and_saveexec_b64 s[76:77], s[92:93]
	s_cbranch_execz .LBB33_99
.LBB33_106:                             ;   in Loop: Header=BB33_85 Depth=2
	global_load_ushort v70, v[6:7], off
	s_or_b64 exec, exec, s[76:77]
	buffer_load_ushort v71, v66, s[0:3], 0 offen
	s_and_saveexec_b64 s[90:91], s[14:15]
	s_cbranch_execz .LBB33_83
.LBB33_107:                             ;   in Loop: Header=BB33_85 Depth=2
	s_mov_b64 s[94:95], 0
                                        ; implicit-def: $vgpr6
                                        ; implicit-def: $vgpr72
                                        ; implicit-def: $vgpr73
                                        ; implicit-def: $vgpr74
                                        ; implicit-def: $vgpr10_vgpr11
                                        ; implicit-def: $sgpr84
	s_and_saveexec_b64 s[76:77], s[6:7]
	s_xor_b64 s[92:93], exec, s[76:77]
	s_cbranch_execz .LBB33_123
; %bb.108:                              ;   in Loop: Header=BB33_85 Depth=2
	v_ashrrev_i32_e32 v7, 31, v24
	v_add_co_u32_e64 v6, s[76:77], v20, v24
	v_addc_co_u32_e64 v7, s[76:77], v1, v7, s[76:77]
	v_lshlrev_b64 v[12:13], 1, v[6:7]
	v_mov_b32_e32 v7, s64
	v_add_co_u32_e64 v6, s[76:77], s63, v12
	v_addc_co_u32_e64 v7, s[76:77], v7, v13, s[76:77]
	global_load_ushort v6, v[6:7], off
	v_mov_b32_e32 v7, 0
	v_mov_b32_e32 v72, 0
	s_and_saveexec_b64 s[84:85], s[34:35]
	s_cbranch_execz .LBB33_110
; %bb.109:                              ;   in Loop: Header=BB33_85 Depth=2
	v_readlane_b32 s72, v85, 18
	v_mov_b32_e32 v9, s72
	v_readlane_b32 s72, v85, 17
	v_add_co_u32_e64 v8, s[76:77], s72, v12
	v_addc_co_u32_e64 v9, s[76:77], v9, v13, s[76:77]
	global_load_ushort v72, v[8:9], off
.LBB33_110:                             ;   in Loop: Header=BB33_85 Depth=2
	s_or_b64 exec, exec, s[84:85]
	s_and_saveexec_b64 s[84:85], s[36:37]
	s_cbranch_execz .LBB33_112
; %bb.111:                              ;   in Loop: Header=BB33_85 Depth=2
	v_readlane_b32 s72, v85, 20
	v_mov_b32_e32 v7, s72
	v_readlane_b32 s72, v85, 19
	v_add_co_u32_e64 v8, s[76:77], s72, v12
	v_addc_co_u32_e64 v9, s[76:77], v7, v13, s[76:77]
	global_load_ushort v7, v[8:9], off
.LBB33_112:                             ;   in Loop: Header=BB33_85 Depth=2
	s_or_b64 exec, exec, s[84:85]
	v_mov_b32_e32 v8, 0
	v_mov_b32_e32 v73, 0
	s_and_saveexec_b64 s[84:85], s[38:39]
	s_cbranch_execz .LBB33_114
; %bb.113:                              ;   in Loop: Header=BB33_85 Depth=2
	v_readlane_b32 s72, v85, 22
	v_mov_b32_e32 v9, s72
	v_readlane_b32 s72, v85, 21
	v_add_co_u32_e64 v10, s[76:77], s72, v12
	v_addc_co_u32_e64 v11, s[76:77], v9, v13, s[76:77]
	global_load_ushort v73, v[10:11], off
.LBB33_114:                             ;   in Loop: Header=BB33_85 Depth=2
	s_or_b64 exec, exec, s[84:85]
	s_and_saveexec_b64 s[84:85], s[40:41]
	s_cbranch_execz .LBB33_116
; %bb.115:                              ;   in Loop: Header=BB33_85 Depth=2
	v_readlane_b32 s72, v85, 24
	v_mov_b32_e32 v9, s72
	v_readlane_b32 s72, v85, 23
	v_add_co_u32_e64 v8, s[76:77], s72, v12
	v_addc_co_u32_e64 v9, s[76:77], v9, v13, s[76:77]
	global_load_ushort v8, v[8:9], off
.LBB33_116:                             ;   in Loop: Header=BB33_85 Depth=2
	s_or_b64 exec, exec, s[84:85]
	v_mov_b32_e32 v9, 0
	v_mov_b32_e32 v74, 0
	s_and_saveexec_b64 s[84:85], s[42:43]
	s_cbranch_execz .LBB33_142
; %bb.117:                              ;   in Loop: Header=BB33_85 Depth=2
	v_readlane_b32 s72, v85, 26
	v_mov_b32_e32 v11, s72
	v_readlane_b32 s72, v85, 25
	v_add_co_u32_e64 v10, s[76:77], s72, v12
	v_addc_co_u32_e64 v11, s[76:77], v11, v13, s[76:77]
	global_load_ushort v74, v[10:11], off
	s_or_b64 exec, exec, s[84:85]
	s_and_saveexec_b64 s[84:85], s[44:45]
	s_cbranch_execnz .LBB33_143
.LBB33_118:                             ;   in Loop: Header=BB33_85 Depth=2
	s_or_b64 exec, exec, s[84:85]
                                        ; implicit-def: $vgpr10_vgpr11
	s_and_saveexec_b64 s[96:97], s[46:47]
	s_cbranch_execz .LBB33_120
.LBB33_119:                             ;   in Loop: Header=BB33_85 Depth=2
	v_readlane_b32 s72, v85, 30
	v_mov_b32_e32 v11, s72
	v_readlane_b32 s72, v85, 29
	v_add_co_u32_e64 v10, s[76:77], s72, v12
	s_mov_b64 s[94:95], exec
	v_addc_co_u32_e64 v11, s[76:77], v11, v13, s[76:77]
.LBB33_120:                             ;   in Loop: Header=BB33_85 Depth=2
	s_or_b64 exec, exec, s[96:97]
	s_mov_b32 s84, 0
	s_and_b64 s[94:95], s[94:95], exec
	s_andn2_saveexec_b64 s[92:93], s[92:93]
	s_cbranch_execnz .LBB33_124
.LBB33_121:                             ;   in Loop: Header=BB33_85 Depth=2
	s_or_b64 exec, exec, s[92:93]
	v_mov_b32_e32 v75, s84
	s_and_saveexec_b64 s[76:77], s[94:95]
	s_cbranch_execz .LBB33_125
.LBB33_122:                             ;   in Loop: Header=BB33_85 Depth=2
	global_load_ushort v75, v[10:11], off
	s_or_b64 exec, exec, s[76:77]
	s_waitcnt vmcnt(1)
	v_cvt_f32_f16_e32 v76, v71
	s_and_saveexec_b64 s[92:93], s[4:5]
	s_cbranch_execz .LBB33_82
	s_branch .LBB33_126
.LBB33_123:                             ;   in Loop: Header=BB33_85 Depth=2
	s_andn2_saveexec_b64 s[92:93], s[92:93]
	s_cbranch_execz .LBB33_121
.LBB33_124:                             ;   in Loop: Header=BB33_85 Depth=2
	s_waitcnt vmcnt(0)
	v_add_u32_e32 v6, v53, v24
	v_ashrrev_i32_e32 v7, 31, v6
	v_lshrrev_b32_e32 v7, 29, v7
	v_add_u32_e32 v6, v6, v7
	v_ashrrev_i32_e32 v6, 3, v6
	v_ashrrev_i32_e32 v7, 31, v6
	v_lshlrev_b64 v[6:7], 4, v[6:7]
	v_mov_b32_e32 v8, s81
	v_add_co_u32_e64 v10, s[76:77], s80, v6
	v_addc_co_u32_e64 v11, s[76:77], v8, v7, s[76:77]
	global_load_dwordx4 v[6:9], v[10:11], off
	v_add_co_u32_e64 v10, s[76:77], 14, v10
	v_addc_co_u32_e64 v11, s[76:77], 0, v11, s[76:77]
	s_or_b64 s[94:95], s[94:95], exec
	s_waitcnt vmcnt(0)
	v_lshrrev_b32_e32 v72, 16, v6
	v_lshrrev_b32_e32 v73, 16, v7
	;; [unrolled: 1-line block ×3, first 2 shown]
	s_or_b64 exec, exec, s[92:93]
	v_mov_b32_e32 v75, s84
	s_and_saveexec_b64 s[76:77], s[94:95]
	s_cbranch_execnz .LBB33_122
.LBB33_125:                             ;   in Loop: Header=BB33_85 Depth=2
	s_or_b64 exec, exec, s[76:77]
	s_waitcnt vmcnt(0)
	v_cvt_f32_f16_e32 v76, v71
	s_and_saveexec_b64 s[92:93], s[4:5]
	s_cbranch_execz .LBB33_82
.LBB33_126:                             ;   in Loop: Header=BB33_85 Depth=2
	s_mov_b64 s[96:97], 0
                                        ; implicit-def: $vgpr10
                                        ; implicit-def: $vgpr77
                                        ; implicit-def: $vgpr78
                                        ; implicit-def: $vgpr79
                                        ; implicit-def: $vgpr14_vgpr15
                                        ; implicit-def: $sgpr84
	s_and_saveexec_b64 s[76:77], s[10:11]
	s_xor_b64 s[94:95], exec, s[76:77]
	s_cbranch_execz .LBB33_144
; %bb.127:                              ;   in Loop: Header=BB33_85 Depth=2
	v_ashrrev_i32_e32 v11, 31, v24
	v_add_co_u32_e64 v10, s[76:77], v20, v24
	v_addc_co_u32_e64 v11, s[76:77], v1, v11, s[76:77]
	v_readlane_b32 s72, v85, 32
	v_lshlrev_b64 v[16:17], 1, v[10:11]
	v_mov_b32_e32 v11, s72
	v_readlane_b32 s72, v85, 31
	v_add_co_u32_e64 v10, s[76:77], s72, v16
	v_addc_co_u32_e64 v11, s[76:77], v11, v17, s[76:77]
	global_load_ushort v10, v[10:11], off
	v_mov_b32_e32 v11, 0
	v_mov_b32_e32 v77, 0
	s_and_saveexec_b64 s[84:85], s[48:49]
	s_cbranch_execz .LBB33_129
; %bb.128:                              ;   in Loop: Header=BB33_85 Depth=2
	v_readlane_b32 s72, v85, 34
	v_mov_b32_e32 v13, s72
	v_readlane_b32 s72, v85, 33
	v_add_co_u32_e64 v12, s[76:77], s72, v16
	v_addc_co_u32_e64 v13, s[76:77], v13, v17, s[76:77]
	global_load_ushort v77, v[12:13], off
.LBB33_129:                             ;   in Loop: Header=BB33_85 Depth=2
	s_or_b64 exec, exec, s[84:85]
	s_and_saveexec_b64 s[84:85], s[50:51]
	s_cbranch_execz .LBB33_131
; %bb.130:                              ;   in Loop: Header=BB33_85 Depth=2
	v_readlane_b32 s72, v85, 36
	v_mov_b32_e32 v11, s72
	v_readlane_b32 s72, v85, 35
	v_add_co_u32_e64 v12, s[76:77], s72, v16
	v_addc_co_u32_e64 v13, s[76:77], v11, v17, s[76:77]
	global_load_ushort v11, v[12:13], off
.LBB33_131:                             ;   in Loop: Header=BB33_85 Depth=2
	s_or_b64 exec, exec, s[84:85]
	v_mov_b32_e32 v12, 0
	v_mov_b32_e32 v78, 0
	s_and_saveexec_b64 s[84:85], s[52:53]
	s_cbranch_execz .LBB33_133
; %bb.132:                              ;   in Loop: Header=BB33_85 Depth=2
	v_readlane_b32 s72, v85, 38
	v_mov_b32_e32 v13, s72
	v_readlane_b32 s72, v85, 37
	v_add_co_u32_e64 v14, s[76:77], s72, v16
	v_addc_co_u32_e64 v15, s[76:77], v13, v17, s[76:77]
	global_load_ushort v78, v[14:15], off
.LBB33_133:                             ;   in Loop: Header=BB33_85 Depth=2
	s_or_b64 exec, exec, s[84:85]
	s_and_saveexec_b64 s[84:85], s[54:55]
	s_cbranch_execz .LBB33_135
; %bb.134:                              ;   in Loop: Header=BB33_85 Depth=2
	v_readlane_b32 s72, v85, 40
	v_mov_b32_e32 v13, s72
	v_readlane_b32 s72, v85, 39
	v_add_co_u32_e64 v12, s[76:77], s72, v16
	v_addc_co_u32_e64 v13, s[76:77], v13, v17, s[76:77]
	global_load_ushort v12, v[12:13], off
.LBB33_135:                             ;   in Loop: Header=BB33_85 Depth=2
	s_or_b64 exec, exec, s[84:85]
	v_mov_b32_e32 v13, 0
	v_mov_b32_e32 v79, 0
	s_and_saveexec_b64 s[84:85], s[56:57]
	s_cbranch_execz .LBB33_164
; %bb.136:                              ;   in Loop: Header=BB33_85 Depth=2
	v_readlane_b32 s72, v85, 42
	v_mov_b32_e32 v15, s72
	v_readlane_b32 s72, v85, 41
	v_add_co_u32_e64 v14, s[76:77], s72, v16
	v_addc_co_u32_e64 v15, s[76:77], v15, v17, s[76:77]
	global_load_ushort v79, v[14:15], off
	s_or_b64 exec, exec, s[84:85]
	s_and_saveexec_b64 s[84:85], s[58:59]
	s_cbranch_execnz .LBB33_165
.LBB33_137:                             ;   in Loop: Header=BB33_85 Depth=2
	s_or_b64 exec, exec, s[84:85]
                                        ; implicit-def: $vgpr14_vgpr15
	s_and_saveexec_b64 s[98:99], s[60:61]
	s_cbranch_execz .LBB33_139
.LBB33_138:                             ;   in Loop: Header=BB33_85 Depth=2
	v_readlane_b32 s72, v85, 46
	v_mov_b32_e32 v15, s72
	v_readlane_b32 s72, v85, 45
	v_add_co_u32_e64 v14, s[76:77], s72, v16
	s_mov_b64 s[96:97], exec
	v_addc_co_u32_e64 v15, s[76:77], v15, v17, s[76:77]
.LBB33_139:                             ;   in Loop: Header=BB33_85 Depth=2
	s_or_b64 exec, exec, s[98:99]
	s_mov_b32 s84, 0
	s_and_b64 s[96:97], s[96:97], exec
	s_andn2_saveexec_b64 s[94:95], s[94:95]
	s_cbranch_execnz .LBB33_145
.LBB33_140:                             ;   in Loop: Header=BB33_85 Depth=2
	s_or_b64 exec, exec, s[94:95]
	v_mov_b32_e32 v80, s84
	s_and_saveexec_b64 s[76:77], s[96:97]
	s_cbranch_execz .LBB33_146
.LBB33_141:                             ;   in Loop: Header=BB33_85 Depth=2
	global_load_ushort v80, v[14:15], off
	s_or_b64 exec, exec, s[76:77]
	s_and_saveexec_b64 s[94:95], s[8:9]
	s_cbranch_execz .LBB33_81
	s_branch .LBB33_147
.LBB33_142:                             ;   in Loop: Header=BB33_85 Depth=2
	s_or_b64 exec, exec, s[84:85]
	s_and_saveexec_b64 s[84:85], s[44:45]
	s_cbranch_execz .LBB33_118
.LBB33_143:                             ;   in Loop: Header=BB33_85 Depth=2
	v_readlane_b32 s72, v85, 28
	v_mov_b32_e32 v9, s72
	v_readlane_b32 s72, v85, 27
	v_add_co_u32_e64 v10, s[76:77], s72, v12
	v_addc_co_u32_e64 v11, s[76:77], v9, v13, s[76:77]
	global_load_ushort v9, v[10:11], off
	s_or_b64 exec, exec, s[84:85]
                                        ; implicit-def: $vgpr10_vgpr11
	s_and_saveexec_b64 s[96:97], s[46:47]
	s_cbranch_execnz .LBB33_119
	s_branch .LBB33_120
.LBB33_144:                             ;   in Loop: Header=BB33_85 Depth=2
	s_andn2_saveexec_b64 s[94:95], s[94:95]
	s_cbranch_execz .LBB33_140
.LBB33_145:                             ;   in Loop: Header=BB33_85 Depth=2
	s_waitcnt vmcnt(0)
	v_add_u32_e32 v10, v44, v24
	v_ashrrev_i32_e32 v11, 31, v10
	v_lshrrev_b32_e32 v11, 29, v11
	v_add_u32_e32 v10, v10, v11
	v_ashrrev_i32_e32 v10, 3, v10
	v_ashrrev_i32_e32 v11, 31, v10
	v_lshlrev_b64 v[10:11], 4, v[10:11]
	v_mov_b32_e32 v12, s81
	v_add_co_u32_e64 v14, s[76:77], s80, v10
	v_addc_co_u32_e64 v15, s[76:77], v12, v11, s[76:77]
	global_load_dwordx4 v[10:13], v[14:15], off
	v_add_co_u32_e64 v14, s[76:77], 14, v14
	v_addc_co_u32_e64 v15, s[76:77], 0, v15, s[76:77]
	s_or_b64 s[96:97], s[96:97], exec
	s_waitcnt vmcnt(0)
	v_lshrrev_b32_e32 v77, 16, v10
	v_lshrrev_b32_e32 v78, 16, v11
	;; [unrolled: 1-line block ×3, first 2 shown]
	s_or_b64 exec, exec, s[94:95]
	v_mov_b32_e32 v80, s84
	s_and_saveexec_b64 s[76:77], s[96:97]
	s_cbranch_execnz .LBB33_141
.LBB33_146:                             ;   in Loop: Header=BB33_85 Depth=2
	s_or_b64 exec, exec, s[76:77]
	s_and_saveexec_b64 s[94:95], s[8:9]
	s_cbranch_execz .LBB33_81
.LBB33_147:                             ;   in Loop: Header=BB33_85 Depth=2
	s_mov_b64 s[98:99], 0
                                        ; implicit-def: $vgpr14
                                        ; implicit-def: $vgpr81
                                        ; implicit-def: $vgpr82
                                        ; implicit-def: $vgpr83
                                        ; implicit-def: $vgpr22_vgpr23
                                        ; implicit-def: $sgpr84
	s_and_saveexec_b64 s[76:77], s[12:13]
	s_xor_b64 s[96:97], exec, s[76:77]
	s_cbranch_execz .LBB33_166
; %bb.148:                              ;   in Loop: Header=BB33_85 Depth=2
	v_ashrrev_i32_e32 v15, 31, v24
	v_add_co_u32_e64 v14, s[76:77], v20, v24
	v_addc_co_u32_e64 v15, s[76:77], v1, v15, s[76:77]
	v_readlane_b32 s72, v85, 48
	v_lshlrev_b64 v[24:25], 1, v[14:15]
	v_mov_b32_e32 v15, s72
	v_readlane_b32 s72, v85, 47
	v_add_co_u32_e64 v14, s[76:77], s72, v24
	v_addc_co_u32_e64 v15, s[76:77], v15, v25, s[76:77]
	global_load_ushort v14, v[14:15], off
	v_mov_b32_e32 v15, 0
	v_mov_b32_e32 v81, 0
	s_mov_b64 s[84:85], exec
	v_readlane_b32 s72, v84, 49
	v_readlane_b32 s73, v84, 50
	s_and_b64 s[72:73], s[84:85], s[72:73]
	s_mov_b64 exec, s[72:73]
	s_cbranch_execz .LBB33_150
; %bb.149:                              ;   in Loop: Header=BB33_85 Depth=2
	v_readlane_b32 s72, v85, 50
	v_mov_b32_e32 v17, s72
	v_readlane_b32 s72, v85, 49
	v_add_co_u32_e64 v16, s[76:77], s72, v24
	v_addc_co_u32_e64 v17, s[76:77], v17, v25, s[76:77]
	global_load_ushort v81, v[16:17], off
.LBB33_150:                             ;   in Loop: Header=BB33_85 Depth=2
	s_or_b64 exec, exec, s[84:85]
	s_mov_b64 s[84:85], exec
	v_readlane_b32 s72, v84, 51
	v_readlane_b32 s73, v84, 52
	s_and_b64 s[72:73], s[84:85], s[72:73]
	s_mov_b64 exec, s[72:73]
	s_cbranch_execz .LBB33_152
; %bb.151:                              ;   in Loop: Header=BB33_85 Depth=2
	v_readlane_b32 s72, v85, 52
	v_mov_b32_e32 v15, s72
	v_readlane_b32 s72, v85, 51
	v_add_co_u32_e64 v16, s[76:77], s72, v24
	v_addc_co_u32_e64 v17, s[76:77], v15, v25, s[76:77]
	global_load_ushort v15, v[16:17], off
.LBB33_152:                             ;   in Loop: Header=BB33_85 Depth=2
	s_or_b64 exec, exec, s[84:85]
	v_mov_b32_e32 v16, 0
	v_mov_b32_e32 v82, 0
	s_mov_b64 s[84:85], exec
	v_readlane_b32 s72, v84, 53
	v_readlane_b32 s73, v84, 54
	s_and_b64 s[72:73], s[84:85], s[72:73]
	s_mov_b64 exec, s[72:73]
	s_cbranch_execz .LBB33_154
; %bb.153:                              ;   in Loop: Header=BB33_85 Depth=2
	v_readlane_b32 s72, v85, 54
	v_mov_b32_e32 v17, s72
	v_readlane_b32 s72, v85, 53
	v_add_co_u32_e64 v22, s[76:77], s72, v24
	v_addc_co_u32_e64 v23, s[76:77], v17, v25, s[76:77]
	global_load_ushort v82, v[22:23], off
.LBB33_154:                             ;   in Loop: Header=BB33_85 Depth=2
	s_or_b64 exec, exec, s[84:85]
	s_mov_b64 s[84:85], exec
	v_readlane_b32 s72, v84, 55
	v_readlane_b32 s73, v84, 56
	s_and_b64 s[72:73], s[84:85], s[72:73]
	s_mov_b64 exec, s[72:73]
	s_cbranch_execz .LBB33_156
; %bb.155:                              ;   in Loop: Header=BB33_85 Depth=2
	v_readlane_b32 s72, v85, 56
	v_mov_b32_e32 v17, s72
	v_readlane_b32 s72, v85, 55
	v_add_co_u32_e64 v16, s[76:77], s72, v24
	v_addc_co_u32_e64 v17, s[76:77], v17, v25, s[76:77]
	global_load_ushort v16, v[16:17], off
.LBB33_156:                             ;   in Loop: Header=BB33_85 Depth=2
	s_or_b64 exec, exec, s[84:85]
	;; [unrolled: 32-line block ×3, first 2 shown]
                                        ; implicit-def: $vgpr22_vgpr23
	s_and_saveexec_b64 s[84:85], s[74:75]
	s_cbranch_execz .LBB33_162
; %bb.161:                              ;   in Loop: Header=BB33_85 Depth=2
	v_readlane_b32 s72, v85, 62
	v_mov_b32_e32 v23, s72
	v_readlane_b32 s72, v85, 61
	v_add_co_u32_e64 v22, s[76:77], s72, v24
	s_mov_b64 s[98:99], exec
	v_addc_co_u32_e64 v23, s[76:77], v23, v25, s[76:77]
.LBB33_162:                             ;   in Loop: Header=BB33_85 Depth=2
	s_or_b64 exec, exec, s[84:85]
	s_mov_b32 s84, 0
	s_and_b64 s[98:99], s[98:99], exec
                                        ; implicit-def: $vgpr24
	s_andn2_saveexec_b64 s[96:97], s[96:97]
	s_cbranch_execnz .LBB33_167
.LBB33_163:                             ;   in Loop: Header=BB33_85 Depth=2
	s_or_b64 exec, exec, s[96:97]
	v_mov_b32_e32 v24, s84
	s_and_saveexec_b64 s[76:77], s[98:99]
	s_cbranch_execz .LBB33_80
	s_branch .LBB33_168
.LBB33_164:                             ;   in Loop: Header=BB33_85 Depth=2
	s_or_b64 exec, exec, s[84:85]
	s_and_saveexec_b64 s[84:85], s[58:59]
	s_cbranch_execz .LBB33_137
.LBB33_165:                             ;   in Loop: Header=BB33_85 Depth=2
	v_readlane_b32 s72, v85, 44
	v_mov_b32_e32 v13, s72
	v_readlane_b32 s72, v85, 43
	v_add_co_u32_e64 v14, s[76:77], s72, v16
	v_addc_co_u32_e64 v15, s[76:77], v13, v17, s[76:77]
	global_load_ushort v13, v[14:15], off
	s_or_b64 exec, exec, s[84:85]
                                        ; implicit-def: $vgpr14_vgpr15
	s_and_saveexec_b64 s[98:99], s[60:61]
	s_cbranch_execnz .LBB33_138
	s_branch .LBB33_139
.LBB33_166:                             ;   in Loop: Header=BB33_85 Depth=2
	s_andn2_saveexec_b64 s[96:97], s[96:97]
	s_cbranch_execz .LBB33_163
.LBB33_167:                             ;   in Loop: Header=BB33_85 Depth=2
	s_waitcnt vmcnt(0)
	v_add_u32_e32 v14, v34, v24
	v_ashrrev_i32_e32 v15, 31, v14
	v_lshrrev_b32_e32 v15, 29, v15
	v_add_u32_e32 v14, v14, v15
	v_ashrrev_i32_e32 v14, 3, v14
	v_ashrrev_i32_e32 v15, 31, v14
	v_lshlrev_b64 v[14:15], 4, v[14:15]
	v_mov_b32_e32 v16, s81
	v_add_co_u32_e64 v22, s[76:77], s80, v14
	v_addc_co_u32_e64 v23, s[76:77], v16, v15, s[76:77]
	global_load_dwordx4 v[14:17], v[22:23], off
	v_add_co_u32_e64 v22, s[76:77], 14, v22
	v_addc_co_u32_e64 v23, s[76:77], 0, v23, s[76:77]
	s_or_b64 s[98:99], s[98:99], exec
	s_waitcnt vmcnt(0)
	v_lshrrev_b32_e32 v81, 16, v14
	v_lshrrev_b32_e32 v82, 16, v15
	;; [unrolled: 1-line block ×3, first 2 shown]
	s_or_b64 exec, exec, s[96:97]
	v_mov_b32_e32 v24, s84
	s_and_saveexec_b64 s[76:77], s[98:99]
	s_cbranch_execz .LBB33_80
.LBB33_168:                             ;   in Loop: Header=BB33_85 Depth=2
	global_load_ushort v24, v[22:23], off
	s_branch .LBB33_80
.LBB33_169:                             ;   in Loop: Header=BB33_69 Depth=1
	v_readlane_b32 s14, v84, 47
	v_readlane_b32 s15, v84, 48
.LBB33_170:                             ;   in Loop: Header=BB33_69 Depth=1
	v_add_u32_e32 v2, s79, v20
	v_cmp_gt_i32_e64 s[4:5], s78, v53
	v_cmp_le_i32_e32 vcc, s78, v53
	s_and_saveexec_b64 s[6:7], vcc
	s_xor_b64 s[6:7], exec, s[6:7]
	s_cbranch_execz .LBB33_188
; %bb.171:                              ;   in Loop: Header=BB33_69 Depth=1
	v_cmp_gt_i32_e32 vcc, s78, v20
	s_and_saveexec_b64 s[8:9], vcc
	s_cbranch_execz .LBB33_173
; %bb.172:                              ;   in Loop: Header=BB33_69 Depth=1
	v_ashrrev_i32_e32 v3, 31, v2
	v_lshlrev_b64 v[4:5], 1, v[2:3]
	v_mov_b32_e32 v1, s83
	v_add_co_u32_e32 v4, vcc, s82, v4
	v_addc_co_u32_e32 v5, vcc, v1, v5, vcc
	global_load_ushort v1, v[4:5], off
	s_waitcnt vmcnt(0)
	v_add_f16_e32 v1, v1, v64
	global_store_short v[4:5], v1, off
.LBB33_173:                             ;   in Loop: Header=BB33_69 Depth=1
	s_or_b64 exec, exec, s[8:9]
	v_or_b32_e32 v1, 1, v20
	v_cmp_gt_i32_e32 vcc, s78, v1
	s_and_saveexec_b64 s[8:9], vcc
	s_cbranch_execz .LBB33_175
; %bb.174:                              ;   in Loop: Header=BB33_69 Depth=1
	v_ashrrev_i32_e32 v3, 31, v2
	v_readlane_b32 s10, v85, 4
	v_lshlrev_b64 v[4:5], 1, v[2:3]
	v_mov_b32_e32 v1, s10
	v_readlane_b32 s10, v85, 3
	v_add_co_u32_e32 v4, vcc, s10, v4
	v_addc_co_u32_e32 v5, vcc, v1, v5, vcc
	global_load_ushort v1, v[4:5], off
	s_waitcnt vmcnt(0)
	v_add_f16_e32 v1, v1, v63
	global_store_short v[4:5], v1, off
.LBB33_175:                             ;   in Loop: Header=BB33_69 Depth=1
	s_or_b64 exec, exec, s[8:9]
	v_or_b32_e32 v1, 2, v20
	v_cmp_gt_i32_e32 vcc, s78, v1
	s_and_saveexec_b64 s[8:9], vcc
	s_cbranch_execz .LBB33_177
; %bb.176:                              ;   in Loop: Header=BB33_69 Depth=1
	v_ashrrev_i32_e32 v3, 31, v2
	v_readlane_b32 s10, v85, 6
	v_lshlrev_b64 v[4:5], 1, v[2:3]
	v_mov_b32_e32 v1, s10
	v_readlane_b32 s10, v85, 5
	v_add_co_u32_e32 v4, vcc, s10, v4
	v_addc_co_u32_e32 v5, vcc, v1, v5, vcc
	global_load_ushort v1, v[4:5], off
	s_waitcnt vmcnt(0)
	v_add_f16_e32 v1, v1, v62
	global_store_short v[4:5], v1, off
.LBB33_177:                             ;   in Loop: Header=BB33_69 Depth=1
	;; [unrolled: 18-line block ×7, first 2 shown]
	s_or_b64 exec, exec, s[8:9]
                                        ; implicit-def: $vgpr2
                                        ; implicit-def: $vgpr64
                                        ; implicit-def: $vgpr63
                                        ; implicit-def: $vgpr62
                                        ; implicit-def: $vgpr61
                                        ; implicit-def: $vgpr60
                                        ; implicit-def: $vgpr59
                                        ; implicit-def: $vgpr58
                                        ; implicit-def: $vgpr57
.LBB33_188:                             ;   in Loop: Header=BB33_69 Depth=1
	s_andn2_saveexec_b64 s[6:7], s[6:7]
	s_cbranch_execz .LBB33_190
; %bb.189:                              ;   in Loop: Header=BB33_69 Depth=1
	v_ashrrev_i32_e32 v1, 31, v2
	v_lshrrev_b32_e32 v1, 29, v1
	v_add_u32_e32 v1, v2, v1
	v_ashrrev_i32_e32 v2, 3, v1
	v_ashrrev_i32_e32 v3, 31, v2
	v_lshlrev_b64 v[2:3], 4, v[2:3]
	v_mov_b32_e32 v1, s83
	v_add_co_u32_e32 v6, vcc, s82, v2
	v_addc_co_u32_e32 v7, vcc, v1, v3, vcc
	global_load_dwordx4 v[2:5], v[6:7], off
	s_waitcnt vmcnt(0)
	v_add_f16_e32 v1, v64, v2
	v_add_f16_sdwa v2, v63, v2 dst_sel:DWORD dst_unused:UNUSED_PAD src0_sel:DWORD src1_sel:WORD_1
	v_add_f16_e32 v8, v62, v3
	v_add_f16_sdwa v3, v61, v3 dst_sel:DWORD dst_unused:UNUSED_PAD src0_sel:DWORD src1_sel:WORD_1
	;; [unrolled: 2-line block ×4, first 2 shown]
	v_pack_b32_f16 v5, v10, v5
	v_pack_b32_f16 v4, v9, v4
	;; [unrolled: 1-line block ×4, first 2 shown]
	global_store_dwordx4 v[6:7], v[2:5], off
.LBB33_190:                             ;   in Loop: Header=BB33_69 Depth=1
	s_or_b64 exec, exec, s[6:7]
	v_cmp_gt_i32_e32 vcc, s78, v44
	v_cmp_le_i32_e64 s[6:7], s78, v44
	s_and_saveexec_b64 s[8:9], s[6:7]
	s_xor_b64 s[6:7], exec, s[8:9]
	s_cbranch_execz .LBB33_208
; %bb.191:                              ;   in Loop: Header=BB33_69 Depth=1
	s_and_saveexec_b64 s[8:9], s[4:5]
	s_cbranch_execz .LBB33_193
; %bb.192:                              ;   in Loop: Header=BB33_69 Depth=1
	v_ashrrev_i32_e32 v1, 31, v20
	v_mov_b32_e32 v3, s65
	v_add_co_u32_e64 v2, s[4:5], s79, v20
	v_addc_co_u32_e64 v3, s[4:5], v1, v3, s[4:5]
	v_readlane_b32 s4, v84, 0
	v_lshlrev_b64 v[2:3], 1, v[2:3]
	v_mov_b32_e32 v1, s4
	v_readlane_b32 s4, v85, 63
	v_add_co_u32_e64 v2, s[4:5], s4, v2
	v_addc_co_u32_e64 v3, s[4:5], v1, v3, s[4:5]
	global_load_ushort v1, v[2:3], off
	s_waitcnt vmcnt(0)
	v_add_f16_e32 v1, v1, v56
	global_store_short v[2:3], v1, off
.LBB33_193:                             ;   in Loop: Header=BB33_69 Depth=1
	s_or_b64 exec, exec, s[8:9]
	v_or_b32_e32 v1, 9, v20
	v_cmp_gt_i32_e64 s[4:5], s78, v1
	s_and_saveexec_b64 s[8:9], s[4:5]
	s_cbranch_execz .LBB33_195
; %bb.194:                              ;   in Loop: Header=BB33_69 Depth=1
	v_ashrrev_i32_e32 v1, 31, v20
	v_mov_b32_e32 v3, s65
	v_add_co_u32_e64 v2, s[4:5], s79, v20
	v_addc_co_u32_e64 v3, s[4:5], v1, v3, s[4:5]
	v_readlane_b32 s4, v84, 2
	v_lshlrev_b64 v[2:3], 1, v[2:3]
	v_mov_b32_e32 v1, s4
	v_readlane_b32 s4, v84, 1
	v_add_co_u32_e64 v2, s[4:5], s4, v2
	v_addc_co_u32_e64 v3, s[4:5], v1, v3, s[4:5]
	global_load_ushort v1, v[2:3], off
	s_waitcnt vmcnt(0)
	v_add_f16_e32 v1, v1, v55
	global_store_short v[2:3], v1, off
.LBB33_195:                             ;   in Loop: Header=BB33_69 Depth=1
	s_or_b64 exec, exec, s[8:9]
	v_or_b32_e32 v1, 10, v20
	v_cmp_gt_i32_e64 s[4:5], s78, v1
	;; [unrolled: 21-line block ×7, first 2 shown]
	s_and_saveexec_b64 s[8:9], s[4:5]
	s_cbranch_execz .LBB33_207
; %bb.206:                              ;   in Loop: Header=BB33_69 Depth=1
	v_ashrrev_i32_e32 v1, 31, v20
	v_mov_b32_e32 v3, s65
	v_add_co_u32_e64 v2, s[4:5], s79, v20
	v_addc_co_u32_e64 v3, s[4:5], v1, v3, s[4:5]
	v_readlane_b32 s4, v84, 14
	v_lshlrev_b64 v[2:3], 1, v[2:3]
	v_mov_b32_e32 v1, s4
	v_readlane_b32 s4, v84, 13
	v_add_co_u32_e64 v2, s[4:5], s4, v2
	v_addc_co_u32_e64 v3, s[4:5], v1, v3, s[4:5]
	global_load_ushort v1, v[2:3], off
	s_waitcnt vmcnt(0)
	v_add_f16_e32 v1, v1, v48
	global_store_short v[2:3], v1, off
.LBB33_207:                             ;   in Loop: Header=BB33_69 Depth=1
	s_or_b64 exec, exec, s[8:9]
                                        ; implicit-def: $vgpr56
                                        ; implicit-def: $vgpr55
                                        ; implicit-def: $vgpr54
                                        ; implicit-def: $vgpr52
                                        ; implicit-def: $vgpr51
                                        ; implicit-def: $vgpr50
                                        ; implicit-def: $vgpr49
                                        ; implicit-def: $vgpr48
                                        ; implicit-def: $vgpr53
.LBB33_208:                             ;   in Loop: Header=BB33_69 Depth=1
	s_andn2_saveexec_b64 s[6:7], s[6:7]
	s_cbranch_execz .LBB33_210
; %bb.209:                              ;   in Loop: Header=BB33_69 Depth=1
	v_add_u32_e32 v1, s79, v53
	v_ashrrev_i32_e32 v2, 31, v1
	v_lshrrev_b32_e32 v2, 29, v2
	v_add_u32_e32 v1, v1, v2
	v_ashrrev_i32_e32 v2, 3, v1
	v_ashrrev_i32_e32 v3, 31, v2
	v_lshlrev_b64 v[2:3], 4, v[2:3]
	v_mov_b32_e32 v1, s83
	v_add_co_u32_e64 v6, s[4:5], s82, v2
	v_addc_co_u32_e64 v7, s[4:5], v1, v3, s[4:5]
	global_load_ushort v1, v[6:7], off offset:14
	v_perm_b32 v5, v48, v49, s70
	v_perm_b32 v4, v50, v51, s70
	;; [unrolled: 1-line block ×3, first 2 shown]
	s_waitcnt vmcnt(0)
	v_add_f16_e32 v1, v56, v1
	v_perm_b32 v2, v55, v1, s70
	global_store_dwordx4 v[6:7], v[2:5], off
.LBB33_210:                             ;   in Loop: Header=BB33_69 Depth=1
	s_or_b64 exec, exec, s[6:7]
	v_cmp_gt_i32_e64 s[4:5], s78, v34
	v_cmp_le_i32_e64 s[6:7], s78, v34
	s_and_saveexec_b64 s[8:9], s[6:7]
	s_xor_b64 s[6:7], exec, s[8:9]
	s_cbranch_execz .LBB33_228
; %bb.211:                              ;   in Loop: Header=BB33_69 Depth=1
	s_and_saveexec_b64 s[8:9], vcc
	s_cbranch_execz .LBB33_213
; %bb.212:                              ;   in Loop: Header=BB33_69 Depth=1
	v_ashrrev_i32_e32 v1, 31, v20
	v_mov_b32_e32 v3, s65
	v_add_co_u32_e32 v2, vcc, s79, v20
	v_addc_co_u32_e32 v3, vcc, v1, v3, vcc
	v_readlane_b32 s10, v84, 16
	v_lshlrev_b64 v[2:3], 1, v[2:3]
	v_mov_b32_e32 v1, s10
	v_readlane_b32 s10, v84, 15
	v_add_co_u32_e32 v2, vcc, s10, v2
	v_addc_co_u32_e32 v3, vcc, v1, v3, vcc
	global_load_ushort v1, v[2:3], off
	s_waitcnt vmcnt(0)
	v_add_f16_e32 v1, v1, v47
	global_store_short v[2:3], v1, off
.LBB33_213:                             ;   in Loop: Header=BB33_69 Depth=1
	s_or_b64 exec, exec, s[8:9]
	v_or_b32_e32 v1, 17, v20
	v_cmp_gt_i32_e32 vcc, s78, v1
	s_and_saveexec_b64 s[8:9], vcc
	s_cbranch_execz .LBB33_215
; %bb.214:                              ;   in Loop: Header=BB33_69 Depth=1
	v_ashrrev_i32_e32 v1, 31, v20
	v_mov_b32_e32 v3, s65
	v_add_co_u32_e32 v2, vcc, s79, v20
	v_addc_co_u32_e32 v3, vcc, v1, v3, vcc
	v_readlane_b32 s10, v84, 18
	v_lshlrev_b64 v[2:3], 1, v[2:3]
	v_mov_b32_e32 v1, s10
	v_readlane_b32 s10, v84, 17
	v_add_co_u32_e32 v2, vcc, s10, v2
	v_addc_co_u32_e32 v3, vcc, v1, v3, vcc
	global_load_ushort v1, v[2:3], off
	s_waitcnt vmcnt(0)
	v_add_f16_e32 v1, v1, v46
	global_store_short v[2:3], v1, off
.LBB33_215:                             ;   in Loop: Header=BB33_69 Depth=1
	s_or_b64 exec, exec, s[8:9]
	v_or_b32_e32 v1, 18, v20
	v_cmp_gt_i32_e32 vcc, s78, v1
	s_and_saveexec_b64 s[8:9], vcc
	s_cbranch_execz .LBB33_217
; %bb.216:                              ;   in Loop: Header=BB33_69 Depth=1
	v_ashrrev_i32_e32 v1, 31, v20
	v_mov_b32_e32 v3, s65
	v_add_co_u32_e32 v2, vcc, s79, v20
	v_addc_co_u32_e32 v3, vcc, v1, v3, vcc
	v_readlane_b32 s10, v84, 20
	v_lshlrev_b64 v[2:3], 1, v[2:3]
	v_mov_b32_e32 v1, s10
	v_readlane_b32 s10, v84, 19
	v_add_co_u32_e32 v2, vcc, s10, v2
	v_addc_co_u32_e32 v3, vcc, v1, v3, vcc
	global_load_ushort v1, v[2:3], off
	s_waitcnt vmcnt(0)
	v_add_f16_e32 v1, v1, v45
	global_store_short v[2:3], v1, off
.LBB33_217:                             ;   in Loop: Header=BB33_69 Depth=1
	s_or_b64 exec, exec, s[8:9]
	v_or_b32_e32 v1, 19, v20
	v_cmp_gt_i32_e32 vcc, s78, v1
	s_and_saveexec_b64 s[8:9], vcc
	s_cbranch_execz .LBB33_219
; %bb.218:                              ;   in Loop: Header=BB33_69 Depth=1
	v_ashrrev_i32_e32 v1, 31, v20
	v_mov_b32_e32 v3, s65
	v_add_co_u32_e32 v2, vcc, s79, v20
	v_addc_co_u32_e32 v3, vcc, v1, v3, vcc
	v_readlane_b32 s10, v84, 22
	v_lshlrev_b64 v[2:3], 1, v[2:3]
	v_mov_b32_e32 v1, s10
	v_readlane_b32 s10, v84, 21
	v_add_co_u32_e32 v2, vcc, s10, v2
	v_addc_co_u32_e32 v3, vcc, v1, v3, vcc
	global_load_ushort v1, v[2:3], off
	s_waitcnt vmcnt(0)
	v_add_f16_e32 v1, v1, v43
	global_store_short v[2:3], v1, off
.LBB33_219:                             ;   in Loop: Header=BB33_69 Depth=1
	s_or_b64 exec, exec, s[8:9]
	v_or_b32_e32 v1, 20, v20
	v_cmp_gt_i32_e32 vcc, s78, v1
	s_and_saveexec_b64 s[8:9], vcc
	s_cbranch_execz .LBB33_221
; %bb.220:                              ;   in Loop: Header=BB33_69 Depth=1
	v_ashrrev_i32_e32 v1, 31, v20
	v_mov_b32_e32 v3, s65
	v_add_co_u32_e32 v2, vcc, s79, v20
	v_addc_co_u32_e32 v3, vcc, v1, v3, vcc
	v_readlane_b32 s10, v84, 24
	v_lshlrev_b64 v[2:3], 1, v[2:3]
	v_mov_b32_e32 v1, s10
	v_readlane_b32 s10, v84, 23
	v_add_co_u32_e32 v2, vcc, s10, v2
	v_addc_co_u32_e32 v3, vcc, v1, v3, vcc
	global_load_ushort v1, v[2:3], off
	s_waitcnt vmcnt(0)
	v_add_f16_e32 v1, v1, v42
	global_store_short v[2:3], v1, off
.LBB33_221:                             ;   in Loop: Header=BB33_69 Depth=1
	s_or_b64 exec, exec, s[8:9]
	v_or_b32_e32 v1, 21, v20
	v_cmp_gt_i32_e32 vcc, s78, v1
	s_and_saveexec_b64 s[8:9], vcc
	s_cbranch_execz .LBB33_223
; %bb.222:                              ;   in Loop: Header=BB33_69 Depth=1
	v_ashrrev_i32_e32 v1, 31, v20
	v_mov_b32_e32 v3, s65
	v_add_co_u32_e32 v2, vcc, s79, v20
	v_addc_co_u32_e32 v3, vcc, v1, v3, vcc
	v_readlane_b32 s10, v84, 26
	v_lshlrev_b64 v[2:3], 1, v[2:3]
	v_mov_b32_e32 v1, s10
	v_readlane_b32 s10, v84, 25
	v_add_co_u32_e32 v2, vcc, s10, v2
	v_addc_co_u32_e32 v3, vcc, v1, v3, vcc
	global_load_ushort v1, v[2:3], off
	s_waitcnt vmcnt(0)
	v_add_f16_e32 v1, v1, v41
	global_store_short v[2:3], v1, off
.LBB33_223:                             ;   in Loop: Header=BB33_69 Depth=1
	s_or_b64 exec, exec, s[8:9]
	v_or_b32_e32 v1, 22, v20
	v_cmp_gt_i32_e32 vcc, s78, v1
	s_and_saveexec_b64 s[8:9], vcc
	s_cbranch_execz .LBB33_225
; %bb.224:                              ;   in Loop: Header=BB33_69 Depth=1
	v_ashrrev_i32_e32 v1, 31, v20
	v_mov_b32_e32 v3, s65
	v_add_co_u32_e32 v2, vcc, s79, v20
	v_addc_co_u32_e32 v3, vcc, v1, v3, vcc
	v_readlane_b32 s10, v84, 28
	v_lshlrev_b64 v[2:3], 1, v[2:3]
	v_mov_b32_e32 v1, s10
	v_readlane_b32 s10, v84, 27
	v_add_co_u32_e32 v2, vcc, s10, v2
	v_addc_co_u32_e32 v3, vcc, v1, v3, vcc
	global_load_ushort v1, v[2:3], off
	s_waitcnt vmcnt(0)
	v_add_f16_e32 v1, v1, v40
	global_store_short v[2:3], v1, off
.LBB33_225:                             ;   in Loop: Header=BB33_69 Depth=1
	s_or_b64 exec, exec, s[8:9]
	v_or_b32_e32 v1, 23, v20
	v_cmp_gt_i32_e32 vcc, s78, v1
	s_and_saveexec_b64 s[8:9], vcc
	s_cbranch_execz .LBB33_227
; %bb.226:                              ;   in Loop: Header=BB33_69 Depth=1
	v_ashrrev_i32_e32 v1, 31, v20
	v_mov_b32_e32 v3, s65
	v_add_co_u32_e32 v2, vcc, s79, v20
	v_addc_co_u32_e32 v3, vcc, v1, v3, vcc
	v_readlane_b32 s10, v84, 30
	v_lshlrev_b64 v[2:3], 1, v[2:3]
	v_mov_b32_e32 v1, s10
	v_readlane_b32 s10, v84, 29
	v_add_co_u32_e32 v2, vcc, s10, v2
	v_addc_co_u32_e32 v3, vcc, v1, v3, vcc
	global_load_ushort v1, v[2:3], off
	s_waitcnt vmcnt(0)
	v_add_f16_e32 v1, v1, v39
	global_store_short v[2:3], v1, off
.LBB33_227:                             ;   in Loop: Header=BB33_69 Depth=1
	s_or_b64 exec, exec, s[8:9]
                                        ; implicit-def: $vgpr47
                                        ; implicit-def: $vgpr46
                                        ; implicit-def: $vgpr45
                                        ; implicit-def: $vgpr43
                                        ; implicit-def: $vgpr42
                                        ; implicit-def: $vgpr41
                                        ; implicit-def: $vgpr40
                                        ; implicit-def: $vgpr39
                                        ; implicit-def: $vgpr44
.LBB33_228:                             ;   in Loop: Header=BB33_69 Depth=1
	s_andn2_saveexec_b64 s[6:7], s[6:7]
	s_cbranch_execz .LBB33_230
; %bb.229:                              ;   in Loop: Header=BB33_69 Depth=1
	v_add_u32_e32 v1, s79, v44
	v_ashrrev_i32_e32 v2, 31, v1
	v_lshrrev_b32_e32 v2, 29, v2
	v_add_u32_e32 v1, v1, v2
	v_ashrrev_i32_e32 v2, 3, v1
	v_ashrrev_i32_e32 v3, 31, v2
	v_lshlrev_b64 v[2:3], 4, v[2:3]
	v_mov_b32_e32 v1, s83
	v_add_co_u32_e32 v6, vcc, s82, v2
	v_addc_co_u32_e32 v7, vcc, v1, v3, vcc
	v_perm_b32 v5, v39, v40, s70
	v_perm_b32 v4, v41, v42, s70
	;; [unrolled: 1-line block ×4, first 2 shown]
	global_store_dwordx4 v[6:7], v[2:5], off
.LBB33_230:                             ;   in Loop: Header=BB33_69 Depth=1
	s_or_b64 exec, exec, s[6:7]
	v_cmp_le_i32_e32 vcc, s78, v36
	s_and_saveexec_b64 s[6:7], vcc
	s_xor_b64 s[6:7], exec, s[6:7]
	s_cbranch_execz .LBB33_248
; %bb.231:                              ;   in Loop: Header=BB33_69 Depth=1
	s_and_saveexec_b64 s[8:9], s[4:5]
	s_cbranch_execz .LBB33_233
; %bb.232:                              ;   in Loop: Header=BB33_69 Depth=1
	v_ashrrev_i32_e32 v1, 31, v20
	v_mov_b32_e32 v3, s65
	v_add_co_u32_e32 v2, vcc, s79, v20
	v_addc_co_u32_e32 v3, vcc, v1, v3, vcc
	v_readlane_b32 s4, v84, 32
	v_lshlrev_b64 v[2:3], 1, v[2:3]
	v_mov_b32_e32 v1, s4
	v_readlane_b32 s4, v84, 31
	v_add_co_u32_e32 v2, vcc, s4, v2
	v_addc_co_u32_e32 v3, vcc, v1, v3, vcc
	global_load_ushort v1, v[2:3], off
	s_waitcnt vmcnt(0)
	v_add_f16_e32 v1, v1, v38
	global_store_short v[2:3], v1, off
.LBB33_233:                             ;   in Loop: Header=BB33_69 Depth=1
	s_or_b64 exec, exec, s[8:9]
	v_or_b32_e32 v1, 25, v20
	v_cmp_gt_i32_e32 vcc, s78, v1
	s_and_saveexec_b64 s[4:5], vcc
	s_cbranch_execz .LBB33_235
; %bb.234:                              ;   in Loop: Header=BB33_69 Depth=1
	v_ashrrev_i32_e32 v1, 31, v20
	v_mov_b32_e32 v3, s65
	v_add_co_u32_e32 v2, vcc, s79, v20
	v_addc_co_u32_e32 v3, vcc, v1, v3, vcc
	v_readlane_b32 s8, v84, 34
	v_lshlrev_b64 v[2:3], 1, v[2:3]
	v_mov_b32_e32 v1, s8
	v_readlane_b32 s8, v84, 33
	v_add_co_u32_e32 v2, vcc, s8, v2
	v_addc_co_u32_e32 v3, vcc, v1, v3, vcc
	global_load_ushort v1, v[2:3], off
	s_waitcnt vmcnt(0)
	v_add_f16_e32 v1, v1, v37
	global_store_short v[2:3], v1, off
.LBB33_235:                             ;   in Loop: Header=BB33_69 Depth=1
	s_or_b64 exec, exec, s[4:5]
	v_or_b32_e32 v1, 26, v20
	v_cmp_gt_i32_e32 vcc, s78, v1
	s_and_saveexec_b64 s[4:5], vcc
	;; [unrolled: 21-line block ×7, first 2 shown]
	s_cbranch_execz .LBB33_247
; %bb.246:                              ;   in Loop: Header=BB33_69 Depth=1
	v_ashrrev_i32_e32 v1, 31, v20
	v_mov_b32_e32 v3, s65
	v_add_co_u32_e32 v2, vcc, s79, v20
	v_addc_co_u32_e32 v3, vcc, v1, v3, vcc
	v_readlane_b32 s8, v84, 46
	v_lshlrev_b64 v[2:3], 1, v[2:3]
	v_mov_b32_e32 v1, s8
	v_readlane_b32 s8, v84, 45
	v_add_co_u32_e32 v2, vcc, s8, v2
	v_addc_co_u32_e32 v3, vcc, v1, v3, vcc
	global_load_ushort v1, v[2:3], off
	s_waitcnt vmcnt(0)
	v_add_f16_e32 v1, v1, v29
	global_store_short v[2:3], v1, off
.LBB33_247:                             ;   in Loop: Header=BB33_69 Depth=1
	s_or_b64 exec, exec, s[4:5]
                                        ; implicit-def: $vgpr38
                                        ; implicit-def: $vgpr37
                                        ; implicit-def: $vgpr35
                                        ; implicit-def: $vgpr33
                                        ; implicit-def: $vgpr32
                                        ; implicit-def: $vgpr31
                                        ; implicit-def: $vgpr30
                                        ; implicit-def: $vgpr29
                                        ; implicit-def: $vgpr34
.LBB33_248:                             ;   in Loop: Header=BB33_69 Depth=1
	s_andn2_saveexec_b64 s[4:5], s[6:7]
	s_cbranch_execz .LBB33_68
; %bb.249:                              ;   in Loop: Header=BB33_69 Depth=1
	v_add_u32_e32 v1, s79, v34
	v_ashrrev_i32_e32 v2, 31, v1
	v_lshrrev_b32_e32 v2, 29, v2
	v_add_u32_e32 v1, v1, v2
	v_ashrrev_i32_e32 v2, 3, v1
	v_ashrrev_i32_e32 v3, 31, v2
	v_lshlrev_b64 v[2:3], 4, v[2:3]
	v_mov_b32_e32 v1, s83
	v_add_co_u32_e32 v6, vcc, s82, v2
	v_addc_co_u32_e32 v7, vcc, v1, v3, vcc
	v_perm_b32 v5, v29, v30, s70
	v_perm_b32 v4, v31, v32, s70
	;; [unrolled: 1-line block ×4, first 2 shown]
	global_store_dwordx4 v[6:7], v[2:5], off
	s_branch .LBB33_68
.LBB33_250:
	s_endpgm
	.section	.rodata,"a",@progbits
	.p2align	6, 0x0
	.amdhsa_kernel _Z27kspmm_coo_very_sparse_naiveI6__halfLi32ELi16EEvPiS1_S1_S1_S1_PS0_PT_S2_Pfiiii
		.amdhsa_group_segment_fixed_size 4096
		.amdhsa_private_segment_fixed_size 208
		.amdhsa_kernarg_size 344
		.amdhsa_user_sgpr_count 8
		.amdhsa_user_sgpr_private_segment_buffer 1
		.amdhsa_user_sgpr_dispatch_ptr 0
		.amdhsa_user_sgpr_queue_ptr 0
		.amdhsa_user_sgpr_kernarg_segment_ptr 1
		.amdhsa_user_sgpr_dispatch_id 0
		.amdhsa_user_sgpr_flat_scratch_init 1
		.amdhsa_user_sgpr_kernarg_preload_length 0
		.amdhsa_user_sgpr_kernarg_preload_offset 0
		.amdhsa_user_sgpr_private_segment_size 0
		.amdhsa_uses_dynamic_stack 0
		.amdhsa_system_sgpr_private_segment_wavefront_offset 1
		.amdhsa_system_sgpr_workgroup_id_x 1
		.amdhsa_system_sgpr_workgroup_id_y 0
		.amdhsa_system_sgpr_workgroup_id_z 0
		.amdhsa_system_sgpr_workgroup_info 0
		.amdhsa_system_vgpr_workitem_id 0
		.amdhsa_next_free_vgpr 86
		.amdhsa_next_free_sgpr 100
		.amdhsa_accum_offset 88
		.amdhsa_reserve_vcc 1
		.amdhsa_reserve_flat_scratch 0
		.amdhsa_float_round_mode_32 0
		.amdhsa_float_round_mode_16_64 0
		.amdhsa_float_denorm_mode_32 3
		.amdhsa_float_denorm_mode_16_64 3
		.amdhsa_dx10_clamp 1
		.amdhsa_ieee_mode 1
		.amdhsa_fp16_overflow 0
		.amdhsa_tg_split 0
		.amdhsa_exception_fp_ieee_invalid_op 0
		.amdhsa_exception_fp_denorm_src 0
		.amdhsa_exception_fp_ieee_div_zero 0
		.amdhsa_exception_fp_ieee_overflow 0
		.amdhsa_exception_fp_ieee_underflow 0
		.amdhsa_exception_fp_ieee_inexact 0
		.amdhsa_exception_int_div_zero 0
	.end_amdhsa_kernel
	.section	.text._Z27kspmm_coo_very_sparse_naiveI6__halfLi32ELi16EEvPiS1_S1_S1_S1_PS0_PT_S2_Pfiiii,"axG",@progbits,_Z27kspmm_coo_very_sparse_naiveI6__halfLi32ELi16EEvPiS1_S1_S1_S1_PS0_PT_S2_Pfiiii,comdat
.Lfunc_end33:
	.size	_Z27kspmm_coo_very_sparse_naiveI6__halfLi32ELi16EEvPiS1_S1_S1_S1_PS0_PT_S2_Pfiiii, .Lfunc_end33-_Z27kspmm_coo_very_sparse_naiveI6__halfLi32ELi16EEvPiS1_S1_S1_S1_PS0_PT_S2_Pfiiii
                                        ; -- End function
	.section	.AMDGPU.csdata,"",@progbits
; Kernel info:
; codeLenInByte = 12044
; NumSgprs: 104
; NumVgprs: 86
; NumAgprs: 0
; TotalNumVgprs: 86
; ScratchSize: 208
; MemoryBound: 0
; FloatMode: 240
; IeeeMode: 1
; LDSByteSize: 4096 bytes/workgroup (compile time only)
; SGPRBlocks: 12
; VGPRBlocks: 10
; NumSGPRsForWavesPerEU: 104
; NumVGPRsForWavesPerEU: 86
; AccumOffset: 88
; Occupancy: 5
; WaveLimiterHint : 1
; COMPUTE_PGM_RSRC2:SCRATCH_EN: 1
; COMPUTE_PGM_RSRC2:USER_SGPR: 8
; COMPUTE_PGM_RSRC2:TRAP_HANDLER: 0
; COMPUTE_PGM_RSRC2:TGID_X_EN: 1
; COMPUTE_PGM_RSRC2:TGID_Y_EN: 0
; COMPUTE_PGM_RSRC2:TGID_Z_EN: 0
; COMPUTE_PGM_RSRC2:TIDIG_COMP_CNT: 0
; COMPUTE_PGM_RSRC3_GFX90A:ACCUM_OFFSET: 21
; COMPUTE_PGM_RSRC3_GFX90A:TG_SPLIT: 0
	.section	.text._Z27kspmm_coo_very_sparse_naiveIaLi8ELi8EEvPiS0_S0_S0_S0_P6__halfPT_S2_Pfiiii,"axG",@progbits,_Z27kspmm_coo_very_sparse_naiveIaLi8ELi8EEvPiS0_S0_S0_S0_P6__halfPT_S2_Pfiiii,comdat
